;; amdgpu-corpus repo=ROCm/rocFFT kind=compiled arch=gfx1030 opt=O3
	.text
	.amdgcn_target "amdgcn-amd-amdhsa--gfx1030"
	.amdhsa_code_object_version 6
	.protected	bluestein_single_fwd_len768_dim1_sp_op_CI_CI ; -- Begin function bluestein_single_fwd_len768_dim1_sp_op_CI_CI
	.globl	bluestein_single_fwd_len768_dim1_sp_op_CI_CI
	.p2align	8
	.type	bluestein_single_fwd_len768_dim1_sp_op_CI_CI,@function
bluestein_single_fwd_len768_dim1_sp_op_CI_CI: ; @bluestein_single_fwd_len768_dim1_sp_op_CI_CI
; %bb.0:
	s_load_dwordx4 s[12:15], s[4:5], 0x28
	v_mul_u32_u24_e32 v1, 0x556, v0
	v_mov_b32_e32 v73, 0
	s_mov_b32 s0, exec_lo
	v_lshrrev_b32_e32 v1, 16, v1
	v_add_nc_u32_e32 v72, s6, v1
	s_waitcnt lgkmcnt(0)
	v_cmpx_gt_u64_e64 s[12:13], v[72:73]
	s_cbranch_execz .LBB0_10
; %bb.1:
	s_clause 0x1
	s_load_dwordx4 s[8:11], s[4:5], 0x18
	s_load_dwordx4 s[0:3], s[4:5], 0x0
	v_mul_lo_u16 v1, v1, 48
	s_load_dwordx2 s[4:5], s[4:5], 0x38
	v_sub_nc_u16 v32, v0, v1
	v_and_b32_e32 v111, 0xffff, v32
	v_or_b32_e32 v109, 0xc0, v111
	v_or_b32_e32 v108, 0x180, v111
	;; [unrolled: 1-line block ×3, first 2 shown]
	s_waitcnt lgkmcnt(0)
	s_load_dwordx4 s[16:19], s[8:9], 0x0
	v_lshlrev_b32_e32 v110, 3, v111
	s_clause 0x5
	global_load_dwordx2 v[95:96], v110, s[0:1]
	global_load_dwordx2 v[93:94], v110, s[0:1] offset:384
	global_load_dwordx2 v[91:92], v110, s[0:1] offset:768
	;; [unrolled: 1-line block ×5, first 2 shown]
	v_add_co_u32 v28, s6, s0, v110
	v_add_co_ci_u32_e64 v29, null, s1, 0, s6
	v_lshlrev_b32_e32 v38, 3, v108
	v_lshlrev_b32_e32 v39, 3, v107
	v_add_nc_u32_e32 v37, 0xc00, v110
	s_waitcnt lgkmcnt(0)
	v_mad_u64_u32 v[0:1], null, s18, v72, 0
	v_mad_u64_u32 v[2:3], null, s16, v111, 0
	;; [unrolled: 1-line block ×9, first 2 shown]
	v_mov_b32_e32 v1, v10
	v_mad_u64_u32 v[14:15], null, s17, v107, v[9:10]
	v_mov_b32_e32 v3, v11
	v_mov_b32_e32 v5, v12
	v_lshlrev_b64 v[0:1], 3, v[0:1]
	v_mov_b32_e32 v7, v13
	s_mul_i32 s6, s17, 0x180
	v_lshlrev_b64 v[2:3], 3, v[2:3]
	v_mov_b32_e32 v9, v14
	v_lshlrev_b64 v[4:5], 3, v[4:5]
	v_add_co_u32 v18, vcc_lo, s14, v0
	v_add_co_ci_u32_e32 v19, vcc_lo, s15, v1, vcc_lo
	s_mul_hi_u32 s7, s16, 0x180
	v_add_co_u32 v2, vcc_lo, v18, v2
	v_add_co_ci_u32_e32 v3, vcc_lo, v19, v3, vcc_lo
	s_mul_i32 s8, s16, 0x180
	s_add_i32 s7, s7, s6
	v_lshlrev_b64 v[0:1], 3, v[6:7]
	v_lshlrev_b64 v[6:7], 3, v[8:9]
	v_add_co_u32 v8, vcc_lo, v2, s8
	v_add_co_ci_u32_e32 v9, vcc_lo, s7, v3, vcc_lo
	v_add_co_u32 v4, vcc_lo, v18, v4
	v_add_co_ci_u32_e32 v5, vcc_lo, v19, v5, vcc_lo
	v_add_co_u32 v10, vcc_lo, v8, s8
	v_add_co_ci_u32_e32 v11, vcc_lo, s7, v9, vcc_lo
	v_add_co_u32 v0, vcc_lo, v18, v0
	v_add_co_ci_u32_e32 v1, vcc_lo, v19, v1, vcc_lo
	v_add_co_u32 v12, vcc_lo, v10, s8
	v_add_co_ci_u32_e32 v13, vcc_lo, s7, v11, vcc_lo
	s_mul_i32 s9, s17, 0x300
	s_mul_hi_u32 s12, s16, 0x300
	s_mul_i32 s13, s16, 0x300
	s_add_i32 s12, s12, s9
	v_add_co_u32 v14, vcc_lo, v12, s13
	v_add_co_ci_u32_e32 v15, vcc_lo, s12, v13, vcc_lo
	s_clause 0x1
	global_load_dwordx2 v[0:1], v[0:1], off
	global_load_dwordx2 v[16:17], v[4:5], off
	v_add_co_u32 v4, vcc_lo, v14, s8
	v_add_co_ci_u32_e32 v5, vcc_lo, s7, v15, vcc_lo
	v_add_co_u32 v6, vcc_lo, v18, v6
	v_add_co_ci_u32_e32 v7, vcc_lo, v19, v7, vcc_lo
	;; [unrolled: 2-line block ×3, first 2 shown]
	s_clause 0x3
	global_load_dwordx2 v[2:3], v[2:3], off
	global_load_dwordx2 v[8:9], v[8:9], off
	;; [unrolled: 1-line block ×4, first 2 shown]
	global_load_dwordx2 v[81:82], v38, s[0:1]
	global_load_dwordx2 v[6:7], v[6:7], off
	global_load_dwordx2 v[64:65], v39, s[0:1]
	global_load_dwordx2 v[14:15], v[14:15], off
	global_load_dwordx2 v[20:21], v[4:5], off
	v_add_co_u32 v4, vcc_lo, v18, s13
	v_add_co_ci_u32_e32 v5, vcc_lo, s12, v19, vcc_lo
	v_add_co_u32 v22, vcc_lo, 0x800, v28
	v_add_co_ci_u32_e32 v23, vcc_lo, 0, v29, vcc_lo
	global_load_dwordx2 v[18:19], v[18:19], off
	global_load_dwordx2 v[24:25], v[4:5], off
	v_add_co_u32 v4, vcc_lo, v4, s8
	v_add_co_ci_u32_e32 v5, vcc_lo, s7, v5, vcc_lo
	s_clause 0x2
	global_load_dwordx2 v[87:88], v[22:23], off offset:256
	global_load_dwordx2 v[83:84], v[22:23], off offset:640
	;; [unrolled: 1-line block ×3, first 2 shown]
	v_add_co_u32 v26, vcc_lo, v4, s8
	v_add_co_ci_u32_e32 v27, vcc_lo, s7, v5, vcc_lo
	v_add_co_u32 v28, vcc_lo, 0x1000, v28
	v_add_co_ci_u32_e32 v29, vcc_lo, 0, v29, vcc_lo
	v_add_co_u32 v30, vcc_lo, v26, s13
	v_add_co_ci_u32_e32 v31, vcc_lo, s12, v27, vcc_lo
	global_load_dwordx2 v[33:34], v[4:5], off
	global_load_dwordx2 v[73:74], v[22:23], off offset:1792
	global_load_dwordx2 v[22:23], v[26:27], off
	global_load_dwordx2 v[75:76], v[28:29], off offset:128
	global_load_dwordx2 v[26:27], v[30:31], off
	v_add_co_u32 v4, vcc_lo, v30, s8
	v_add_co_ci_u32_e32 v5, vcc_lo, s7, v31, vcc_lo
	global_load_dwordx2 v[66:67], v[28:29], off offset:896
	v_add_co_u32 v30, vcc_lo, v4, s8
	v_add_co_ci_u32_e32 v31, vcc_lo, s7, v5, vcc_lo
	global_load_dwordx2 v[35:36], v[4:5], off
	s_clause 0x1
	global_load_dwordx2 v[68:69], v[28:29], off offset:1280
	global_load_dwordx2 v[70:71], v[28:29], off offset:1664
	global_load_dwordx2 v[28:29], v[30:31], off
	s_load_dwordx4 s[8:11], s[10:11], 0x0
	v_add_nc_u32_e32 v4, 0x800, v110
	v_add_nc_u32_e32 v5, 0x1000, v110
	v_cmp_gt_u16_e32 vcc_lo, 16, v32
	s_waitcnt vmcnt(24)
	v_mul_f32_e32 v40, v17, v86
	v_mul_f32_e32 v41, v16, v86
	v_fmac_f32_e32 v40, v16, v85
	s_waitcnt vmcnt(23)
	v_mul_f32_e32 v31, v2, v96
	v_mul_f32_e32 v30, v3, v96
	v_fma_f32 v41, v17, v85, -v41
	s_waitcnt vmcnt(19)
	v_mul_f32_e32 v42, v1, v82
	v_mul_f32_e32 v43, v0, v82
	s_waitcnt vmcnt(17)
	v_mul_f32_e32 v44, v7, v65
	v_mul_f32_e32 v45, v6, v65
	v_fma_f32 v31, v3, v95, -v31
	v_fmac_f32_e32 v30, v2, v95
	v_mul_f32_e32 v3, v8, v94
	v_mul_f32_e32 v2, v9, v94
	v_fmac_f32_e32 v42, v0, v81
	v_fma_f32 v43, v1, v81, -v43
	v_fma_f32 v45, v7, v64, -v45
	v_fmac_f32_e32 v44, v6, v64
	v_mul_f32_e32 v0, v11, v92
	v_mul_f32_e32 v1, v10, v92
	;; [unrolled: 1-line block ×4, first 2 shown]
	v_fma_f32 v3, v9, v93, -v3
	v_fmac_f32_e32 v2, v8, v93
	s_waitcnt vmcnt(16)
	v_mul_f32_e32 v8, v15, v80
	v_mul_f32_e32 v9, v14, v80
	v_fmac_f32_e32 v0, v10, v91
	v_fma_f32 v1, v11, v91, -v1
	v_fma_f32 v7, v13, v89, -v7
	v_fmac_f32_e32 v6, v12, v89
	v_fmac_f32_e32 v8, v14, v79
	v_fma_f32 v9, v15, v79, -v9
	ds_write2_b64 v110, v[30:31], v[2:3] offset1:48
	ds_write2_b64 v110, v[0:1], v[6:7] offset0:96 offset1:144
	s_waitcnt vmcnt(12)
	v_mul_f32_e32 v1, v20, v88
	s_waitcnt vmcnt(11)
	v_mul_f32_e32 v3, v18, v84
	;; [unrolled: 2-line block ×3, first 2 shown]
	v_mul_f32_e32 v10, v21, v88
	v_mul_f32_e32 v0, v19, v84
	;; [unrolled: 1-line block ×3, first 2 shown]
	ds_write2_b64 v110, v[40:41], v[8:9] offset0:192 offset1:240
	v_fma_f32 v11, v21, v87, -v1
	v_fma_f32 v1, v19, v83, -v3
	s_waitcnt vmcnt(8)
	v_mul_f32_e32 v6, v34, v74
	v_fma_f32 v3, v25, v77, -v7
	v_mul_f32_e32 v7, v33, v74
	s_waitcnt vmcnt(6)
	v_mul_f32_e32 v8, v23, v76
	v_mul_f32_e32 v9, v22, v76
	s_waitcnt vmcnt(4)
	v_mul_f32_e32 v12, v27, v67
	;; [unrolled: 3-line block ×4, first 2 shown]
	v_mul_f32_e32 v17, v28, v71
	v_fmac_f32_e32 v10, v20, v87
	v_fmac_f32_e32 v0, v18, v83
	v_fmac_f32_e32 v2, v24, v77
	v_fmac_f32_e32 v6, v33, v73
	v_fma_f32 v7, v34, v73, -v7
	v_fmac_f32_e32 v8, v22, v75
	v_fma_f32 v9, v23, v75, -v9
	v_fmac_f32_e32 v12, v26, v66
	;; [unrolled: 2-line block ×4, first 2 shown]
	v_fma_f32 v17, v29, v70, -v17
	ds_write2_b64 v4, v[10:11], v[0:1] offset0:32 offset1:80
	ds_write2_b64 v4, v[42:43], v[2:3] offset0:128 offset1:176
	;; [unrolled: 1-line block ×5, first 2 shown]
	s_waitcnt lgkmcnt(0)
	s_barrier
	buffer_gl0_inv
	ds_read2_b64 v[0:3], v110 offset1:48
	ds_read2_b64 v[6:9], v4 offset0:128 offset1:176
	ds_read2_b64 v[10:13], v110 offset0:192 offset1:240
	ds_read2_b64 v[14:17], v5 offset0:64 offset1:112
	ds_read2_b64 v[18:21], v110 offset0:96 offset1:144
	ds_read2_b64 v[22:25], v37 offset0:96 offset1:144
	ds_read2_b64 v[26:29], v4 offset0:32 offset1:80
	ds_read2_b64 v[33:36], v5 offset0:160 offset1:208
	v_mov_b32_e32 v30, 3
	v_lshlrev_b16 v31, 4, v32
	s_waitcnt lgkmcnt(0)
	s_barrier
	buffer_gl0_inv
                                        ; kill: def $vgpr32 killed $sgpr0 killed $exec
	v_lshlrev_b32_sdwa v40, v30, v31 dst_sel:DWORD dst_unused:UNUSED_PAD src0_sel:DWORD src1_sel:WORD_0
	v_sub_f32_e32 v6, v0, v6
	v_sub_f32_e32 v7, v1, v7
	;; [unrolled: 1-line block ×16, first 2 shown]
	v_fma_f32 v0, v0, 2.0, -v6
	v_fma_f32 v1, v1, 2.0, -v7
	v_fma_f32 v2, v2, 2.0, -v8
	v_fma_f32 v3, v3, 2.0, -v9
	v_fma_f32 v10, v10, 2.0, -v14
	v_fma_f32 v11, v11, 2.0, -v15
	v_fma_f32 v12, v12, 2.0, -v16
	v_fma_f32 v13, v13, 2.0, -v17
	v_fma_f32 v18, v18, 2.0, -v22
	v_fma_f32 v19, v19, 2.0, -v23
	v_fma_f32 v20, v20, 2.0, -v24
	v_fma_f32 v21, v21, 2.0, -v25
	v_fma_f32 v26, v26, 2.0, -v30
	v_fma_f32 v27, v27, 2.0, -v31
	v_fma_f32 v28, v28, 2.0, -v33
	v_fma_f32 v29, v29, 2.0, -v34
	v_sub_f32_e32 v15, v6, v15
	v_add_f32_e32 v30, v23, v30
	v_sub_f32_e32 v31, v22, v31
	v_add_f32_e32 v14, v7, v14
	;; [unrolled: 2-line block ×4, first 2 shown]
	v_fma_f32 v23, v23, 2.0, -v30
	v_fmamk_f32 v35, v31, 0x3f3504f3, v15
	v_fmamk_f32 v36, v30, 0x3f3504f3, v14
	v_fma_f32 v22, v22, 2.0, -v31
	v_fma_f32 v25, v25, 2.0, -v33
	v_fmamk_f32 v37, v34, 0x3f3504f3, v17
	v_fmamk_f32 v41, v33, 0x3f3504f3, v16
	v_fma_f32 v24, v24, 2.0, -v34
	v_fma_f32 v42, v6, 2.0, -v15
	;; [unrolled: 1-line block ×5, first 2 shown]
	v_sub_f32_e32 v6, v0, v10
	v_sub_f32_e32 v7, v1, v11
	;; [unrolled: 1-line block ×8, first 2 shown]
	v_fmac_f32_e32 v35, 0xbf3504f3, v30
	v_fmac_f32_e32 v36, 0x3f3504f3, v31
	;; [unrolled: 1-line block ×4, first 2 shown]
	v_fmamk_f32 v30, v22, 0xbf3504f3, v42
	v_fmamk_f32 v31, v23, 0xbf3504f3, v43
	v_fmamk_f32 v26, v24, 0xbf3504f3, v44
	v_fmamk_f32 v27, v25, 0xbf3504f3, v45
	v_fma_f32 v18, v18, 2.0, -v8
	v_fma_f32 v19, v19, 2.0, -v9
	;; [unrolled: 1-line block ×3, first 2 shown]
	v_sub_f32_e32 v28, v6, v9
	v_sub_f32_e32 v9, v10, v11
	v_fma_f32 v11, v20, 2.0, -v13
	v_add_f32_e32 v20, v7, v8
	v_add_f32_e32 v8, v12, v13
	v_fma_f32 v29, v2, 2.0, -v10
	v_fma_f32 v13, v3, 2.0, -v12
	;; [unrolled: 1-line block ×4, first 2 shown]
	v_fmac_f32_e32 v30, 0xbf3504f3, v23
	v_fmac_f32_e32 v31, 0x3f3504f3, v22
	;; [unrolled: 1-line block ×4, first 2 shown]
	v_fmamk_f32 v1, v8, 0x3f3504f3, v20
	v_fmamk_f32 v2, v37, 0x3f6c835e, v35
	;; [unrolled: 1-line block ×3, first 2 shown]
	v_fma_f32 v47, v7, 2.0, -v20
	v_sub_f32_e32 v7, v29, v11
	v_fma_f32 v22, v12, 2.0, -v8
	v_fma_f32 v23, v10, 2.0, -v9
	;; [unrolled: 1-line block ×7, first 2 shown]
	v_sub_f32_e32 v6, v13, v21
	v_fmamk_f32 v0, v9, 0x3f3504f3, v28
	v_sub_f32_e32 v50, v33, v18
	v_sub_f32_e32 v51, v34, v19
	v_fmac_f32_e32 v1, 0x3f3504f3, v9
	v_fmac_f32_e32 v2, 0xbec3ef15, v41
	;; [unrolled: 1-line block ×3, first 2 shown]
	v_fma_f32 v18, v29, 2.0, -v7
	v_fma_f32 v29, v45, 2.0, -v27
	v_fma_f32 v37, v44, 2.0, -v26
	v_fma_f32 v41, v42, 2.0, -v30
	v_fma_f32 v42, v43, 2.0, -v31
	v_fma_f32 v19, v13, 2.0, -v6
	v_fmamk_f32 v10, v23, 0xbf3504f3, v46
	v_fmamk_f32 v11, v22, 0xbf3504f3, v47
	;; [unrolled: 1-line block ×4, first 2 shown]
	v_fmac_f32_e32 v0, 0xbf3504f3, v8
	v_fmamk_f32 v8, v26, 0x3ec3ef15, v30
	v_fmamk_f32 v9, v27, 0x3ec3ef15, v31
	v_fma_f32 v33, v33, 2.0, -v50
	v_fma_f32 v34, v34, 2.0, -v51
	v_fma_f32 v15, v20, 2.0, -v1
	v_fmamk_f32 v20, v37, 0xbf6c835e, v41
	v_fmamk_f32 v21, v29, 0xbf6c835e, v42
	v_fmac_f32_e32 v10, 0xbf3504f3, v22
	v_fmac_f32_e32 v11, 0x3f3504f3, v23
	;; [unrolled: 1-line block ×4, first 2 shown]
	v_sub_f32_e32 v6, v50, v6
	v_add_f32_e32 v7, v51, v7
	v_fmac_f32_e32 v8, 0xbf6c835e, v27
	v_fmac_f32_e32 v9, 0x3f6c835e, v26
	v_sub_f32_e32 v18, v33, v18
	v_sub_f32_e32 v19, v34, v19
	v_fmac_f32_e32 v20, 0xbec3ef15, v29
	v_fmac_f32_e32 v21, 0x3ec3ef15, v37
	v_fma_f32 v14, v28, 2.0, -v0
	v_fma_f32 v16, v35, 2.0, -v2
	;; [unrolled: 1-line block ×11, first 2 shown]
	ds_write_b128 v40, v[0:3] offset:112
	ds_write_b128 v40, v[14:17] offset:48
	v_fma_f32 v14, v33, 2.0, -v18
	v_fma_f32 v15, v34, 2.0, -v19
	;; [unrolled: 1-line block ×4, first 2 shown]
	ds_write_b128 v40, v[10:13] offset:80
	ds_write_b128 v40, v[6:9] offset:96
	;; [unrolled: 1-line block ×5, first 2 shown]
	ds_write_b128 v40, v[14:17]
	s_waitcnt lgkmcnt(0)
	s_barrier
	buffer_gl0_inv
	ds_read2_b64 v[12:15], v110 offset1:48
	ds_read2_b64 v[28:31], v5 offset1:48
	ds_read2_b64 v[24:27], v4 offset0:48 offset1:96
	ds_read2_b64 v[8:11], v110 offset0:96 offset1:144
	;; [unrolled: 1-line block ×4, first 2 shown]
	ds_read2st64_b64 v[4:7], v110 offset0:3 offset1:4
	ds_read_b64 v[0:1], v110 offset:5632
                                        ; implicit-def: $vgpr36
                                        ; implicit-def: $vgpr34
	s_and_saveexec_b32 s6, vcc_lo
	s_cbranch_execz .LBB0_3
; %bb.2:
	v_add_nc_u32_e32 v2, 0x180, v110
	ds_read2st64_b64 v[32:35], v2 offset0:3 offset1:7
	ds_read_b64 v[36:37], v110 offset:6016
	s_waitcnt lgkmcnt(1)
	v_mov_b32_e32 v2, v32
	v_mov_b32_e32 v3, v33
.LBB0_3:
	s_or_b32 exec_lo, exec_lo, s6
	v_lshlrev_b32_e32 v32, 4, v111
	v_and_b32_e32 v33, 15, v111
	v_add_nc_u32_e32 v41, 48, v111
	v_add_nc_u32_e32 v42, 0x60, v111
	;; [unrolled: 1-line block ×3, first 2 shown]
	v_and_b32_e32 v32, 0xf0, v32
	v_lshrrev_b32_e32 v44, 4, v109
	v_lshrrev_b32_e32 v41, 4, v41
	;; [unrolled: 1-line block ×4, first 2 shown]
	s_clause 0x3
	global_load_dwordx2 v[97:98], v32, s[2:3]
	global_load_dwordx2 v[99:100], v32, s[2:3] offset:8
	global_load_dwordx2 v[101:102], v32, s[2:3] offset:4
	global_load_dword v112, v32, s[2:3] offset:12
	v_lshlrev_b32_e32 v32, 4, v33
	v_mul_u32_u24_e32 v44, 48, v44
	v_mul_u32_u24_e32 v41, 48, v41
	;; [unrolled: 1-line block ×4, first 2 shown]
	global_load_dword v114, v32, s[2:3]
	v_lshrrev_b32_e32 v32, 4, v111
	v_or_b32_e32 v44, v44, v33
	v_or_b32_e32 v41, v41, v33
	;; [unrolled: 1-line block ×3, first 2 shown]
	s_waitcnt vmcnt(0) lgkmcnt(0)
	v_mul_u32_u24_e32 v32, 48, v32
	v_lshlrev_b32_e32 v113, 3, v44
	v_lshlrev_b32_e32 v117, 3, v41
	;; [unrolled: 1-line block ×3, first 2 shown]
	s_barrier
	v_or_b32_e32 v32, v32, v33
	v_or_b32_e32 v33, v43, v33
	buffer_gl0_inv
	v_lshlrev_b32_e32 v118, 3, v32
	v_lshlrev_b32_e32 v115, 3, v33
	v_mul_f32_e32 v41, v7, v98
	v_mul_f32_e32 v42, v6, v98
	;; [unrolled: 1-line block ×24, first 2 shown]
	v_fma_f32 v28, v28, v102, -v43
	v_fmac_f32_e32 v44, v29, v102
	v_fma_f32 v6, v6, v114, -v41
	v_fmac_f32_e32 v42, v7, v114
	v_fmac_f32_e32 v52, v21, v102
	v_fma_f32 v21, v22, v102, -v55
	v_fma_f32 v22, v0, v102, -v59
	v_fmac_f32_e32 v60, v1, v102
	v_fma_f32 v1, v34, v97, -v61
	v_fmac_f32_e32 v33, v35, v97
	;; [unrolled: 2-line block ×6, first 2 shown]
	v_fma_f32 v20, v20, v102, -v51
	v_fma_f32 v16, v16, v114, -v53
	v_fmac_f32_e32 v54, v17, v114
	v_fmac_f32_e32 v56, v23, v102
	v_fma_f32 v17, v18, v114, -v57
	v_fmac_f32_e32 v58, v19, v114
	v_add_f32_e32 v19, v6, v28
	v_add_f32_e32 v26, v42, v44
	;; [unrolled: 1-line block ×6, first 2 shown]
	v_sub_f32_e32 v25, v42, v44
	v_add_f32_e32 v23, v13, v42
	v_sub_f32_e32 v34, v46, v48
	v_add_f32_e32 v35, v15, v46
	v_add_f32_e32 v42, v24, v20
	;; [unrolled: 1-line block ×4, first 2 shown]
	v_sub_f32_e32 v27, v6, v28
	v_add_f32_e32 v30, v14, v7
	v_add_f32_e32 v41, v8, v24
	v_sub_f32_e32 v47, v24, v20
	v_add_f32_e32 v24, v10, v16
	v_add_f32_e32 v49, v16, v21
	v_add_f32_e32 v53, v54, v56
	v_add_f32_e32 v57, v17, v22
	v_sub_f32_e32 v59, v58, v60
	v_add_f32_e32 v61, v5, v58
	v_add_f32_e32 v58, v58, v60
	v_sub_f32_e32 v103, v33, v32
	v_sub_f32_e32 v119, v1, v0
	v_fma_f32 v12, -0.5, v19, v12
	v_fma_f32 v13, -0.5, v26, v13
	;; [unrolled: 1-line block ×4, first 2 shown]
	v_sub_f32_e32 v37, v7, v29
	v_fma_f32 v14, -0.5, v31, v14
	v_fmac_f32_e32 v15, -0.5, v36
	v_sub_f32_e32 v43, v50, v52
	v_add_f32_e32 v45, v9, v50
	v_fma_f32 v8, -0.5, v42, v8
	v_fma_f32 v9, -0.5, v46, v9
	v_sub_f32_e32 v50, v54, v56
	v_add_f32_e32 v51, v11, v54
	v_sub_f32_e32 v54, v16, v21
	v_add_f32_e32 v55, v4, v17
	;; [unrolled: 2-line block ×3, first 2 shown]
	v_add_f32_e32 v7, v23, v44
	v_add_f32_e32 v16, v30, v29
	;; [unrolled: 1-line block ×4, first 2 shown]
	v_fma_f32 v10, -0.5, v49, v10
	v_fmac_f32_e32 v11, -0.5, v53
	v_fma_f32 v4, -0.5, v57, v4
	v_fmac_f32_e32 v5, -0.5, v58
	v_fmamk_f32 v24, v25, 0x3f5db3d7, v12
	v_fmac_f32_e32 v12, 0xbf5db3d7, v25
	v_fmamk_f32 v25, v27, 0xbf5db3d7, v13
	v_fmamk_f32 v30, v103, 0x3f5db3d7, v105
	v_fmac_f32_e32 v105, 0xbf5db3d7, v103
	v_fmamk_f32 v31, v119, 0xbf5db3d7, v106
	v_fmac_f32_e32 v106, 0x3f5db3d7, v119
	v_fmac_f32_e32 v13, 0x3f5db3d7, v27
	v_add_f32_e32 v17, v35, v48
	v_fmamk_f32 v26, v34, 0x3f5db3d7, v14
	v_fmamk_f32 v27, v37, 0xbf5db3d7, v15
	v_fmac_f32_e32 v14, 0xbf5db3d7, v34
	v_fmac_f32_e32 v15, 0x3f5db3d7, v37
	v_add_f32_e32 v19, v45, v52
	v_fmamk_f32 v28, v43, 0x3f5db3d7, v8
	v_fmamk_f32 v29, v47, 0xbf5db3d7, v9
	v_add_f32_e32 v21, v51, v56
	v_add_f32_e32 v22, v55, v22
	;; [unrolled: 1-line block ×3, first 2 shown]
	v_fmac_f32_e32 v8, 0xbf5db3d7, v43
	v_fmac_f32_e32 v9, 0x3f5db3d7, v47
	v_fmamk_f32 v34, v50, 0x3f5db3d7, v10
	v_fmac_f32_e32 v10, 0xbf5db3d7, v50
	v_fmamk_f32 v35, v54, 0xbf5db3d7, v11
	;; [unrolled: 2-line block ×4, first 2 shown]
	v_fmac_f32_e32 v5, 0x3f5db3d7, v62
	ds_write2_b64 v118, v[6:7], v[24:25] offset1:16
	ds_write_b64 v118, v[12:13] offset:256
	ds_write2_b64 v117, v[16:17], v[26:27] offset1:16
	ds_write_b64 v117, v[14:15] offset:256
	;; [unrolled: 2-line block ×5, first 2 shown]
	s_and_saveexec_b32 s6, vcc_lo
	s_cbranch_execz .LBB0_5
; %bb.4:
	v_add_f32_e32 v3, v3, v33
	v_add_f32_e32 v2, v2, v1
	v_add_nc_u32_e32 v4, 0x1000, v110
	v_add_f32_e32 v1, v3, v32
	v_add_f32_e32 v0, v2, v0
	ds_write2_b64 v4, v[0:1], v[30:31] offset0:208 offset1:224
	ds_write_b64 v110, v[105:106] offset:6016
.LBB0_5:
	s_or_b32 exec_lo, exec_lo, s6
	v_mad_u64_u32 v[28:29], null, 0x78, v111, s[2:3]
	s_waitcnt lgkmcnt(0)
	s_barrier
	buffer_gl0_inv
	v_add_nc_u32_e32 v32, 0xc00, v110
	v_lshlrev_b32_e32 v37, 3, v111
	s_add_u32 s2, s0, 0x1800
	s_clause 0x7
	global_load_dwordx4 v[24:27], v[28:29], off offset:256
	global_load_dwordx4 v[16:19], v[28:29], off offset:272
	;; [unrolled: 1-line block ×7, first 2 shown]
	global_load_dwordx2 v[103:104], v[28:29], off offset:368
	v_add_nc_u32_e32 v28, 0x800, v110
	v_add_nc_u32_e32 v29, 0x1000, v110
	ds_read2_b64 v[33:36], v110 offset1:48
	ds_read2_b64 v[41:44], v110 offset0:96 offset1:144
	ds_read2_b64 v[45:48], v110 offset0:192 offset1:240
	;; [unrolled: 1-line block ×7, first 2 shown]
	s_addc_u32 s3, s1, 0
	s_waitcnt vmcnt(7) lgkmcnt(7)
	v_mul_f32_e32 v61, v36, v25
	v_mul_f32_e32 v62, v35, v25
	s_waitcnt lgkmcnt(6)
	v_mul_f32_e32 v63, v42, v27
	v_mul_f32_e32 v127, v41, v27
	s_waitcnt vmcnt(6)
	v_mul_f32_e32 v128, v44, v17
	v_mul_f32_e32 v129, v43, v17
	s_waitcnt lgkmcnt(5)
	v_mul_f32_e32 v130, v46, v19
	v_mul_f32_e32 v131, v45, v19
	s_waitcnt vmcnt(5)
	;; [unrolled: 6-line block ×7, first 2 shown]
	v_mul_f32_e32 v152, v126, v104
	v_mul_f32_e32 v153, v125, v104
	v_fma_f32 v35, v35, v24, -v61
	v_fmac_f32_e32 v62, v36, v24
	v_fma_f32 v36, v41, v26, -v63
	v_fmac_f32_e32 v127, v42, v26
	;; [unrolled: 2-line block ×15, first 2 shown]
	v_sub_f32_e32 v46, v33, v46
	v_sub_f32_e32 v54, v34, v139
	;; [unrolled: 1-line block ×16, first 2 shown]
	v_fma_f32 v33, v33, 2.0, -v46
	v_fma_f32 v34, v34, 2.0, -v54
	;; [unrolled: 1-line block ×14, first 2 shown]
	v_sub_f32_e32 v55, v46, v55
	v_add_f32_e32 v50, v54, v50
	v_sub_f32_e32 v57, v48, v57
	v_add_f32_e32 v52, v56, v52
	;; [unrolled: 2-line block ×4, first 2 shown]
	v_fma_f32 v35, v35, 2.0, -v47
	v_fma_f32 v41, v41, 2.0, -v49
	v_sub_f32_e32 v42, v33, v42
	v_sub_f32_e32 v63, v34, v63
	v_fma_f32 v46, v46, 2.0, -v55
	v_fma_f32 v54, v54, 2.0, -v50
	v_sub_f32_e32 v44, v36, v44
	v_sub_f32_e32 v120, v119, v120
	v_fma_f32 v48, v48, 2.0, -v57
	v_fma_f32 v56, v56, 2.0, -v52
	v_sub_f32_e32 v121, v62, v121
	v_fma_f32 v47, v47, 2.0, -v59
	v_fma_f32 v58, v58, 2.0, -v51
	;; [unrolled: 3-line block ×3, first 2 shown]
	v_fmamk_f32 v125, v52, 0x3f3504f3, v50
	v_sub_f32_e32 v43, v35, v43
	v_sub_f32_e32 v45, v41, v45
	v_fmamk_f32 v124, v57, 0x3f3504f3, v55
	v_fmamk_f32 v126, v61, 0x3f3504f3, v59
	;; [unrolled: 1-line block ×3, first 2 shown]
	v_fma_f32 v128, v33, 2.0, -v42
	v_fma_f32 v129, v34, 2.0, -v63
	;; [unrolled: 1-line block ×6, first 2 shown]
	v_fmamk_f32 v130, v48, 0xbf3504f3, v46
	v_fmamk_f32 v131, v56, 0xbf3504f3, v54
	v_fmac_f32_e32 v125, 0x3f3504f3, v57
	v_fmamk_f32 v57, v49, 0xbf3504f3, v47
	v_fmamk_f32 v132, v60, 0xbf3504f3, v58
	v_fma_f32 v119, v35, 2.0, -v43
	v_fma_f32 v35, v41, 2.0, -v45
	v_add_f32_e32 v122, v63, v44
	v_fmac_f32_e32 v124, 0xbf3504f3, v52
	v_sub_f32_e32 v52, v43, v123
	v_add_f32_e32 v123, v121, v45
	v_fmac_f32_e32 v126, 0xbf3504f3, v53
	v_fmac_f32_e32 v127, 0x3f3504f3, v61
	v_sub_f32_e32 v53, v128, v33
	v_sub_f32_e32 v61, v129, v34
	v_fmac_f32_e32 v130, 0xbf3504f3, v56
	v_fmac_f32_e32 v131, 0x3f3504f3, v48
	v_sub_f32_e32 v45, v62, v36
	v_fmac_f32_e32 v57, 0xbf3504f3, v60
	v_fmac_f32_e32 v132, 0x3f3504f3, v49
	v_sub_f32_e32 v120, v42, v120
	v_fma_f32 v135, v50, 2.0, -v125
	v_sub_f32_e32 v48, v119, v35
	v_fma_f32 v56, v121, 2.0, -v123
	v_fmamk_f32 v34, v123, 0x3f3504f3, v122
	v_fma_f32 v121, v128, 2.0, -v53
	v_fma_f32 v128, v129, 2.0, -v61
	;; [unrolled: 1-line block ×13, first 2 shown]
	v_fmamk_f32 v33, v52, 0x3f3504f3, v120
	v_fma_f32 v49, v119, 2.0, -v48
	v_fmac_f32_e32 v34, 0x3f3504f3, v52
	v_fmamk_f32 v51, v62, 0xbf6c835e, v129
	v_fmamk_f32 v52, v58, 0xbf6c835e, v136
	;; [unrolled: 1-line block ×7, first 2 shown]
	v_add_f32_e32 v46, v61, v48
	v_fmamk_f32 v47, v57, 0x3ec3ef15, v130
	v_fmamk_f32 v48, v132, 0x3ec3ef15, v131
	;; [unrolled: 1-line block ×3, first 2 shown]
	v_sub_f32_e32 v49, v121, v49
	v_sub_f32_e32 v50, v128, v50
	v_fmac_f32_e32 v51, 0xbec3ef15, v58
	v_fmac_f32_e32 v52, 0x3ec3ef15, v62
	;; [unrolled: 1-line block ×7, first 2 shown]
	v_sub_f32_e32 v45, v53, v45
	v_fmac_f32_e32 v35, 0xbec3ef15, v127
	v_fmac_f32_e32 v47, 0xbf6c835e, v132
	;; [unrolled: 1-line block ×4, first 2 shown]
	v_fma_f32 v56, v122, 2.0, -v34
	v_fma_f32 v59, v121, 2.0, -v49
	;; [unrolled: 1-line block ×16, first 2 shown]
	ds_write2_b64 v110, v[59:60], v[121:122] offset1:48
	ds_write2_b64 v110, v[61:62], v[119:120] offset0:96 offset1:144
	ds_write2_b64 v110, v[53:54], v[123:124] offset0:192 offset1:240
	;; [unrolled: 1-line block ×7, first 2 shown]
	s_waitcnt lgkmcnt(0)
	s_barrier
	buffer_gl0_inv
	s_clause 0x1
	global_load_dwordx2 v[41:42], v37, s[2:3]
	global_load_dwordx2 v[43:44], v37, s[2:3] offset:384
	v_add_co_u32 v35, s0, s2, v37
	v_add_co_ci_u32_e64 v36, null, s3, 0, s0
	global_load_dwordx2 v[61:62], v37, s[2:3] offset:768
	v_add_co_u32 v33, s0, 0x800, v35
	v_add_co_ci_u32_e64 v34, s0, 0, v36, s0
	v_add_co_u32 v35, s0, 0x1000, v35
	v_add_co_ci_u32_e64 v36, s0, 0, v36, s0
	s_clause 0xc
	global_load_dwordx2 v[123:124], v37, s[2:3] offset:1152
	global_load_dwordx2 v[125:126], v37, s[2:3] offset:1536
	;; [unrolled: 1-line block ×3, first 2 shown]
	global_load_dwordx2 v[129:130], v[33:34], off offset:256
	global_load_dwordx2 v[131:132], v[33:34], off offset:640
	global_load_dwordx2 v[37:38], v38, s[2:3]
	global_load_dwordx2 v[133:134], v[33:34], off offset:1408
	global_load_dwordx2 v[135:136], v[33:34], off offset:1792
	;; [unrolled: 1-line block ×3, first 2 shown]
	global_load_dwordx2 v[139:140], v39, s[2:3]
	global_load_dwordx2 v[141:142], v[35:36], off offset:896
	global_load_dwordx2 v[143:144], v[35:36], off offset:1280
	global_load_dwordx2 v[145:146], v[35:36], off offset:1664
	ds_read2_b64 v[33:36], v110 offset1:48
	s_waitcnt vmcnt(15) lgkmcnt(0)
	v_mul_f32_e32 v39, v34, v42
	v_mul_f32_e32 v45, v33, v42
	s_waitcnt vmcnt(14)
	v_mul_f32_e32 v46, v36, v44
	v_mul_f32_e32 v42, v35, v44
	v_fma_f32 v44, v33, v41, -v39
	v_fmac_f32_e32 v45, v34, v41
	v_fma_f32 v41, v35, v43, -v46
	v_fmac_f32_e32 v42, v36, v43
	ds_write2_b64 v110, v[44:45], v[41:42] offset1:48
	ds_read2_b64 v[33:36], v110 offset0:96 offset1:144
	ds_read2_b64 v[41:44], v110 offset0:192 offset1:240
	;; [unrolled: 1-line block ×7, first 2 shown]
	s_waitcnt vmcnt(13) lgkmcnt(6)
	v_mul_f32_e32 v63, v34, v62
	v_mul_f32_e32 v39, v33, v62
	s_waitcnt vmcnt(12)
	v_mul_f32_e32 v148, v36, v124
	v_mul_f32_e32 v62, v35, v124
	s_waitcnt vmcnt(11) lgkmcnt(5)
	v_mul_f32_e32 v149, v42, v126
	v_mul_f32_e32 v124, v41, v126
	s_waitcnt vmcnt(10)
	v_mul_f32_e32 v150, v44, v128
	v_mul_f32_e32 v126, v43, v128
	;; [unrolled: 6-line block ×7, first 2 shown]
	v_fma_f32 v38, v33, v61, -v63
	v_fmac_f32_e32 v39, v34, v61
	v_fma_f32 v61, v35, v123, -v148
	v_fmac_f32_e32 v62, v36, v123
	;; [unrolled: 2-line block ×14, first 2 shown]
	ds_write2_b64 v110, v[38:39], v[61:62] offset0:96 offset1:144
	ds_write2_b64 v110, v[123:124], v[125:126] offset0:192 offset1:240
	;; [unrolled: 1-line block ×7, first 2 shown]
	s_waitcnt lgkmcnt(0)
	s_barrier
	buffer_gl0_inv
	ds_read2_b64 v[33:36], v110 offset1:48
	ds_read2_b64 v[41:44], v28 offset0:128 offset1:176
	ds_read2_b64 v[45:48], v110 offset0:192 offset1:240
	;; [unrolled: 1-line block ×7, first 2 shown]
	s_waitcnt lgkmcnt(0)
	s_barrier
	buffer_gl0_inv
	v_sub_f32_e32 v32, v33, v41
	v_sub_f32_e32 v37, v34, v42
	;; [unrolled: 1-line block ×16, first 2 shown]
	v_fma_f32 v33, v33, 2.0, -v32
	v_fma_f32 v34, v34, 2.0, -v37
	;; [unrolled: 1-line block ×14, first 2 shown]
	v_add_f32_e32 v39, v32, v39
	v_sub_f32_e32 v38, v37, v38
	v_add_f32_e32 v50, v41, v50
	v_sub_f32_e32 v49, v42, v49
	;; [unrolled: 2-line block ×4, first 2 shown]
	v_fma_f32 v36, v36, 2.0, -v44
	v_fma_f32 v56, v56, 2.0, -v58
	v_sub_f32_e32 v45, v33, v45
	v_sub_f32_e32 v46, v34, v46
	v_fma_f32 v120, v32, 2.0, -v39
	v_fma_f32 v37, v37, 2.0, -v38
	v_sub_f32_e32 v32, v53, v61
	v_sub_f32_e32 v61, v54, v62
	v_fma_f32 v41, v41, 2.0, -v50
	v_fma_f32 v42, v42, 2.0, -v49
	v_sub_f32_e32 v47, v35, v47
	v_fma_f32 v43, v43, 2.0, -v52
	v_fma_f32 v44, v44, 2.0, -v51
	;; [unrolled: 3-line block ×3, first 2 shown]
	v_sub_f32_e32 v48, v36, v48
	v_sub_f32_e32 v63, v56, v119
	v_fmamk_f32 v119, v50, 0x3f3504f3, v39
	v_fmamk_f32 v121, v49, 0x3f3504f3, v38
	;; [unrolled: 1-line block ×4, first 2 shown]
	v_fma_f32 v124, v33, 2.0, -v45
	v_fma_f32 v125, v34, 2.0, -v46
	;; [unrolled: 1-line block ×6, first 2 shown]
	v_fmamk_f32 v126, v41, 0xbf3504f3, v120
	v_fmamk_f32 v127, v42, 0xbf3504f3, v37
	v_add_f32_e32 v55, v45, v61
	v_fmamk_f32 v61, v57, 0xbf3504f3, v43
	v_fmamk_f32 v128, v58, 0xbf3504f3, v44
	v_fma_f32 v36, v36, 2.0, -v48
	v_fma_f32 v54, v56, 2.0, -v63
	v_sub_f32_e32 v56, v46, v32
	v_fmac_f32_e32 v119, 0x3f3504f3, v49
	v_fmac_f32_e32 v121, 0xbf3504f3, v50
	v_add_f32_e32 v49, v47, v63
	v_sub_f32_e32 v50, v48, v62
	v_fmac_f32_e32 v122, 0x3f3504f3, v59
	v_fmac_f32_e32 v123, 0xbf3504f3, v60
	v_sub_f32_e32 v59, v124, v33
	v_sub_f32_e32 v60, v125, v34
	v_fmac_f32_e32 v126, 0x3f3504f3, v42
	v_fmac_f32_e32 v127, 0xbf3504f3, v41
	;; [unrolled: 1-line block ×4, first 2 shown]
	v_fma_f32 v62, v45, 2.0, -v55
	v_fma_f32 v63, v46, 2.0, -v56
	;; [unrolled: 1-line block ×4, first 2 shown]
	v_sub_f32_e32 v41, v36, v54
	v_fma_f32 v54, v47, 2.0, -v49
	v_fma_f32 v57, v48, 2.0, -v50
	;; [unrolled: 1-line block ×4, first 2 shown]
	v_sub_f32_e32 v42, v53, v35
	v_fma_f32 v58, v124, 2.0, -v59
	v_fma_f32 v124, v125, 2.0, -v60
	;; [unrolled: 1-line block ×6, first 2 shown]
	v_fmamk_f32 v32, v49, 0x3f3504f3, v55
	v_fmamk_f32 v33, v50, 0x3f3504f3, v56
	;; [unrolled: 1-line block ×4, first 2 shown]
	v_fma_f32 v46, v36, 2.0, -v41
	v_fmamk_f32 v36, v54, 0xbf3504f3, v62
	v_fmamk_f32 v37, v57, 0xbf3504f3, v63
	;; [unrolled: 1-line block ×6, first 2 shown]
	v_fma_f32 v45, v53, 2.0, -v42
	v_fmamk_f32 v47, v120, 0xbf6c835e, v125
	v_fmamk_f32 v48, v132, 0xbf6c835e, v131
	v_fmac_f32_e32 v32, 0x3f3504f3, v50
	v_fmac_f32_e32 v33, 0xbf3504f3, v49
	;; [unrolled: 1-line block ×8, first 2 shown]
	v_add_f32_e32 v41, v59, v41
	v_sub_f32_e32 v42, v60, v42
	v_fmac_f32_e32 v43, 0x3f6c835e, v128
	v_fmac_f32_e32 v44, 0xbf6c835e, v61
	v_sub_f32_e32 v45, v58, v45
	v_sub_f32_e32 v46, v124, v46
	v_fmac_f32_e32 v47, 0x3ec3ef15, v132
	v_fmac_f32_e32 v48, 0xbec3ef15, v120
	v_fma_f32 v53, v55, 2.0, -v32
	v_fma_f32 v54, v56, 2.0, -v33
	;; [unrolled: 1-line block ×16, first 2 shown]
	ds_write_b128 v40, v[32:35] offset:112
	ds_write_b128 v40, v[53:56] offset:48
	;; [unrolled: 1-line block ×7, first 2 shown]
	ds_write_b128 v40, v[57:60]
	s_waitcnt lgkmcnt(0)
	s_barrier
	buffer_gl0_inv
	ds_read2_b64 v[44:47], v110 offset1:48
	ds_read2_b64 v[60:63], v29 offset1:48
	ds_read2_b64 v[56:59], v28 offset0:48 offset1:96
	ds_read2_b64 v[40:43], v110 offset0:96 offset1:144
	;; [unrolled: 1-line block ×4, first 2 shown]
	ds_read2st64_b64 v[36:39], v110 offset0:3 offset1:4
	ds_read_b64 v[32:33], v110 offset:5632
	s_and_saveexec_b32 s0, vcc_lo
	s_cbranch_execz .LBB0_7
; %bb.6:
	v_add_nc_u32_e32 v28, 0x180, v110
	ds_read2st64_b64 v[28:31], v28 offset0:3 offset1:7
	ds_read_b64 v[105:106], v110 offset:6016
	s_waitcnt lgkmcnt(1)
	v_mov_b32_e32 v34, v28
	v_mov_b32_e32 v35, v29
.LBB0_7:
	s_or_b32 exec_lo, exec_lo, s0
	s_waitcnt lgkmcnt(1)
	v_mul_f32_e32 v119, v98, v39
	v_mul_f32_e32 v28, v98, v38
	;; [unrolled: 1-line block ×5, first 2 shown]
	v_fmac_f32_e32 v119, v114, v38
	v_fma_f32 v38, v114, v39, -v28
	v_mul_f32_e32 v28, v98, v56
	v_fma_f32 v39, v102, v61, -v29
	v_mul_f32_e32 v29, v100, v62
	v_fmac_f32_e32 v120, v102, v60
	v_mul_f32_e32 v60, v100, v63
	v_fmac_f32_e32 v121, v114, v56
	v_fma_f32 v56, v114, v57, -v28
	v_mul_f32_e32 v57, v98, v59
	v_mul_f32_e32 v28, v98, v58
	v_fma_f32 v61, v102, v63, -v29
	v_mul_f32_e32 v29, v100, v52
	v_fmac_f32_e32 v60, v102, v62
	v_mul_f32_e32 v62, v100, v53
	v_fmac_f32_e32 v57, v114, v58
	v_fma_f32 v58, v114, v59, -v28
	v_mul_f32_e32 v28, v98, v48
	v_fma_f32 v53, v102, v53, -v29
	v_mul_f32_e32 v29, v100, v54
	v_mul_f32_e32 v59, v98, v49
	;; [unrolled: 1-line block ×3, first 2 shown]
	v_fma_f32 v122, v114, v49, -v28
	v_mul_f32_e32 v123, v98, v51
	v_mul_f32_e32 v28, v98, v50
	v_fma_f32 v55, v102, v55, -v29
	s_waitcnt lgkmcnt(0)
	v_mul_f32_e32 v98, v100, v33
	v_mul_f32_e32 v29, v100, v32
	v_fmac_f32_e32 v62, v102, v52
	v_fmac_f32_e32 v63, v102, v54
	v_fma_f32 v100, v114, v51, -v28
	v_add_f32_e32 v28, v119, v120
	v_fmac_f32_e32 v98, v102, v32
	v_fma_f32 v102, v102, v33, -v29
	v_add_f32_e32 v29, v38, v39
	v_add_f32_e32 v32, v44, v119
	v_fma_f32 v28, -0.5, v28, v44
	v_sub_f32_e32 v33, v38, v39
	v_add_f32_e32 v44, v45, v38
	v_fma_f32 v29, -0.5, v29, v45
	v_sub_f32_e32 v45, v119, v120
	v_fmac_f32_e32 v59, v114, v48
	v_fmamk_f32 v38, v33, 0xbf5db3d7, v28
	v_fmac_f32_e32 v28, 0x3f5db3d7, v33
	v_add_f32_e32 v33, v44, v39
	v_add_f32_e32 v44, v121, v60
	v_fmamk_f32 v39, v45, 0x3f5db3d7, v29
	v_fmac_f32_e32 v29, 0xbf5db3d7, v45
	v_add_f32_e32 v45, v56, v61
	v_fmac_f32_e32 v123, v114, v50
	v_add_f32_e32 v48, v46, v121
	v_fma_f32 v46, -0.5, v44, v46
	v_sub_f32_e32 v49, v56, v61
	v_add_f32_e32 v50, v47, v56
	v_fmac_f32_e32 v47, -0.5, v45
	v_sub_f32_e32 v51, v121, v60
	v_add_f32_e32 v44, v48, v60
	v_fmamk_f32 v48, v49, 0xbf5db3d7, v46
	v_fmac_f32_e32 v46, 0x3f5db3d7, v49
	v_add_f32_e32 v45, v50, v61
	v_add_f32_e32 v50, v57, v62
	v_fmamk_f32 v49, v51, 0x3f5db3d7, v47
	v_fmac_f32_e32 v47, 0xbf5db3d7, v51
	v_add_f32_e32 v51, v58, v53
	v_add_f32_e32 v52, v40, v57
	v_fma_f32 v40, -0.5, v50, v40
	v_sub_f32_e32 v54, v58, v53
	v_add_f32_e32 v56, v41, v58
	v_fma_f32 v41, -0.5, v51, v41
	v_sub_f32_e32 v57, v57, v62
	v_add_f32_e32 v50, v52, v62
	v_fmamk_f32 v52, v54, 0xbf5db3d7, v40
	v_fmac_f32_e32 v40, 0x3f5db3d7, v54
	v_add_f32_e32 v51, v56, v53
	v_add_f32_e32 v54, v59, v63
	v_fmamk_f32 v53, v57, 0x3f5db3d7, v41
	v_fmac_f32_e32 v41, 0xbf5db3d7, v57
	v_add_f32_e32 v57, v122, v55
	v_add_f32_e32 v56, v42, v59
	v_fma_f32 v42, -0.5, v54, v42
	v_sub_f32_e32 v58, v122, v55
	v_add_f32_e32 v60, v43, v122
	v_fmac_f32_e32 v43, -0.5, v57
	v_sub_f32_e32 v59, v59, v63
	v_add_f32_e32 v54, v56, v63
	v_fmamk_f32 v56, v58, 0xbf5db3d7, v42
	v_fmac_f32_e32 v42, 0x3f5db3d7, v58
	v_add_f32_e32 v58, v123, v98
	v_fmamk_f32 v57, v59, 0x3f5db3d7, v43
	v_fmac_f32_e32 v43, 0xbf5db3d7, v59
	v_add_f32_e32 v59, v100, v102
	v_add_f32_e32 v32, v32, v120
	;; [unrolled: 1-line block ×4, first 2 shown]
	v_fma_f32 v36, -0.5, v58, v36
	v_sub_f32_e32 v61, v100, v102
	v_add_f32_e32 v62, v37, v100
	v_fmac_f32_e32 v37, -0.5, v59
	v_sub_f32_e32 v63, v123, v98
	v_add_f32_e32 v58, v60, v98
	v_fmamk_f32 v60, v61, 0xbf5db3d7, v36
	v_fmac_f32_e32 v36, 0x3f5db3d7, v61
	v_add_f32_e32 v59, v62, v102
	v_fmamk_f32 v61, v63, 0x3f5db3d7, v37
	v_fmac_f32_e32 v37, 0xbf5db3d7, v63
	s_barrier
	buffer_gl0_inv
	ds_write2_b64 v118, v[32:33], v[38:39] offset1:16
	ds_write_b64 v118, v[28:29] offset:256
	ds_write2_b64 v117, v[44:45], v[48:49] offset1:16
	ds_write_b64 v117, v[46:47] offset:256
	;; [unrolled: 2-line block ×5, first 2 shown]
	s_and_saveexec_b32 s0, vcc_lo
	s_cbranch_execz .LBB0_9
; %bb.8:
	v_mul_f32_e32 v28, v101, v30
	v_mul_f32_e32 v29, v112, v105
	;; [unrolled: 1-line block ×4, first 2 shown]
	v_fma_f32 v28, v97, v31, -v28
	v_fma_f32 v31, v99, v106, -v29
	v_fmac_f32_e32 v32, v97, v30
	v_fmac_f32_e32 v33, v99, v105
	v_add_f32_e32 v37, v35, v28
	v_add_f32_e32 v29, v28, v31
	;; [unrolled: 1-line block ×3, first 2 shown]
	v_sub_f32_e32 v36, v32, v33
	v_add_f32_e32 v32, v34, v32
	v_fma_f32 v29, -0.5, v29, v35
	v_sub_f32_e32 v35, v28, v31
	v_fma_f32 v28, -0.5, v30, v34
	v_add_f32_e32 v31, v37, v31
	v_add_f32_e32 v30, v32, v33
	v_fmamk_f32 v33, v36, 0xbf5db3d7, v29
	v_fmac_f32_e32 v29, 0x3f5db3d7, v36
	v_fmamk_f32 v32, v35, 0x3f5db3d7, v28
	v_add_nc_u32_e32 v34, 0x1000, v110
	v_fmac_f32_e32 v28, 0xbf5db3d7, v35
	ds_write2_b64 v34, v[30:31], v[28:29] offset0:208 offset1:224
	ds_write_b64 v110, v[32:33] offset:6016
.LBB0_9:
	s_or_b32 exec_lo, exec_lo, s0
	s_waitcnt lgkmcnt(0)
	s_barrier
	buffer_gl0_inv
	ds_read2_b64 v[31:34], v110 offset1:48
	ds_read2_b64 v[35:38], v110 offset0:96 offset1:144
	ds_read2_b64 v[39:42], v110 offset0:192 offset1:240
	v_add_nc_u32_e32 v30, 0x800, v110
	v_add_nc_u32_e32 v29, 0xc00, v110
	;; [unrolled: 1-line block ×3, first 2 shown]
	ds_read2_b64 v[43:46], v30 offset0:32 offset1:80
	ds_read2_b64 v[47:50], v30 offset0:128 offset1:176
	;; [unrolled: 1-line block ×5, first 2 shown]
	s_mov_b32 s0, 0x55555555
	s_mov_b32 s1, 0x3f555555
	s_mul_i32 s2, s9, 0x180
	s_mul_hi_u32 s3, s8, 0x180
	s_add_i32 s2, s3, s2
	s_mul_i32 s3, s8, 0x180
	s_waitcnt lgkmcnt(7)
	v_mul_f32_e32 v63, v25, v34
	s_waitcnt lgkmcnt(6)
	v_mul_f32_e32 v98, v17, v38
	v_mul_f32_e32 v17, v17, v37
	;; [unrolled: 1-line block ×5, first 2 shown]
	s_waitcnt lgkmcnt(5)
	v_mul_f32_e32 v99, v19, v40
	v_fmac_f32_e32 v98, v16, v37
	v_mul_f32_e32 v19, v19, v39
	v_fma_f32 v16, v16, v38, -v17
	v_mul_f32_e32 v17, v9, v42
	v_mul_f32_e32 v9, v9, v41
	v_fmac_f32_e32 v63, v24, v33
	v_fma_f32 v24, v24, v34, -v25
	v_fmac_f32_e32 v97, v26, v35
	v_fma_f32 v25, v26, v36, -v27
	;; [unrolled: 2-line block ×3, first 2 shown]
	s_waitcnt lgkmcnt(4)
	v_mul_f32_e32 v19, v11, v44
	v_fmac_f32_e32 v17, v8, v41
	v_fma_f32 v8, v8, v42, -v9
	v_mul_f32_e32 v9, v11, v43
	v_mul_f32_e32 v11, v1, v46
	;; [unrolled: 1-line block ×3, first 2 shown]
	s_waitcnt lgkmcnt(3)
	v_mul_f32_e32 v26, v3, v48
	v_mul_f32_e32 v3, v3, v47
	v_fmac_f32_e32 v19, v10, v43
	v_fma_f32 v9, v10, v44, -v9
	v_fmac_f32_e32 v11, v0, v45
	v_fma_f32 v0, v0, v46, -v1
	v_fmac_f32_e32 v26, v2, v47
	v_mul_f32_e32 v1, v21, v50
	v_mul_f32_e32 v10, v21, v49
	v_fma_f32 v2, v2, v48, -v3
	s_waitcnt lgkmcnt(2)
	v_mul_f32_e32 v3, v23, v52
	v_mul_f32_e32 v21, v23, v51
	v_fmac_f32_e32 v1, v20, v49
	v_fma_f32 v10, v20, v50, -v10
	v_mul_f32_e32 v20, v13, v54
	v_fmac_f32_e32 v3, v22, v51
	v_fma_f32 v21, v22, v52, -v21
	v_mul_f32_e32 v13, v13, v53
	s_waitcnt lgkmcnt(1)
	v_mul_f32_e32 v22, v15, v56
	v_mul_f32_e32 v15, v15, v55
	;; [unrolled: 1-line block ×4, first 2 shown]
	v_fmac_f32_e32 v20, v12, v53
	v_fma_f32 v12, v12, v54, -v13
	v_fmac_f32_e32 v22, v14, v55
	v_fma_f32 v13, v14, v56, -v15
	v_fmac_f32_e32 v23, v4, v57
	s_waitcnt lgkmcnt(0)
	v_mul_f32_e32 v14, v7, v60
	v_fma_f32 v4, v4, v58, -v5
	v_mul_f32_e32 v5, v104, v62
	v_mul_f32_e32 v7, v7, v59
	;; [unrolled: 1-line block ×3, first 2 shown]
	v_fmac_f32_e32 v14, v6, v59
	v_sub_f32_e32 v2, v32, v2
	v_fmac_f32_e32 v5, v103, v61
	v_fma_f32 v6, v6, v60, -v7
	v_fma_f32 v15, v103, v62, -v15
	v_sub_f32_e32 v7, v31, v26
	v_sub_f32_e32 v22, v99, v22
	;; [unrolled: 1-line block ×15, first 2 shown]
	v_fma_f32 v26, v31, 2.0, -v7
	v_fma_f32 v31, v99, 2.0, -v22
	;; [unrolled: 1-line block ×7, first 2 shown]
	v_sub_f32_e32 v22, v2, v22
	v_sub_f32_e32 v14, v21, v14
	v_fma_f32 v27, v32, 2.0, -v2
	v_fma_f32 v18, v18, 2.0, -v13
	;; [unrolled: 1-line block ×9, first 2 shown]
	v_sub_f32_e32 v23, v10, v23
	v_sub_f32_e32 v5, v12, v5
	v_fma_f32 v2, v2, 2.0, -v22
	v_add_f32_e32 v6, v3, v6
	v_sub_f32_e32 v17, v33, v17
	v_fma_f32 v21, v21, 2.0, -v14
	v_sub_f32_e32 v11, v34, v11
	v_sub_f32_e32 v31, v26, v31
	;; [unrolled: 1-line block ×3, first 2 shown]
	v_add_f32_e32 v13, v7, v13
	v_sub_f32_e32 v19, v32, v19
	v_sub_f32_e32 v9, v25, v9
	;; [unrolled: 1-line block ×3, first 2 shown]
	v_add_f32_e32 v4, v1, v4
	v_sub_f32_e32 v0, v16, v0
	v_fma_f32 v10, v10, 2.0, -v23
	v_add_f32_e32 v15, v20, v15
	v_fma_f32 v12, v12, 2.0, -v5
	v_fma_f32 v3, v3, 2.0, -v6
	;; [unrolled: 1-line block ×4, first 2 shown]
	v_fmamk_f32 v36, v21, 0xbf3504f3, v2
	v_fma_f32 v26, v26, 2.0, -v31
	v_fma_f32 v27, v27, 2.0, -v18
	;; [unrolled: 1-line block ×9, first 2 shown]
	v_fmamk_f32 v37, v6, 0x3f3504f3, v13
	v_add_f32_e32 v38, v31, v9
	v_fmamk_f32 v42, v12, 0xbf3504f3, v10
	v_fmac_f32_e32 v36, 0xbf3504f3, v3
	v_sub_f32_e32 v34, v33, v34
	v_fmamk_f32 v35, v3, 0xbf3504f3, v7
	v_sub_f32_e32 v32, v26, v32
	v_sub_f32_e32 v25, v27, v25
	v_fmamk_f32 v40, v14, 0x3f3504f3, v22
	v_fmac_f32_e32 v37, 0x3f3504f3, v14
	v_fma_f32 v14, v31, 2.0, -v38
	v_fmamk_f32 v31, v20, 0xbf3504f3, v1
	v_sub_f32_e32 v16, v24, v16
	v_fmac_f32_e32 v42, 0xbf3504f3, v20
	v_fmamk_f32 v45, v5, 0x3f3504f3, v23
	v_sub_f32_e32 v39, v18, v19
	v_fma_f32 v19, v2, 2.0, -v36
	v_fma_f32 v2, v33, 2.0, -v34
	v_fmamk_f32 v33, v15, 0x3f3504f3, v4
	v_sub_f32_e32 v44, v8, v11
	v_fmac_f32_e32 v35, 0x3f3504f3, v21
	v_fma_f32 v21, v26, 2.0, -v32
	v_fma_f32 v26, v27, 2.0, -v25
	v_fmac_f32_e32 v40, 0xbf3504f3, v6
	v_fmac_f32_e32 v31, 0x3f3504f3, v12
	v_fma_f32 v3, v24, 2.0, -v16
	v_fma_f32 v6, v10, 2.0, -v42
	v_fmac_f32_e32 v45, 0xbf3504f3, v15
	v_fma_f32 v18, v18, 2.0, -v39
	v_add_f32_e32 v43, v17, v0
	v_fmac_f32_e32 v33, 0x3f3504f3, v5
	v_fma_f32 v12, v8, 2.0, -v44
	v_fma_f32 v27, v7, 2.0, -v35
	;; [unrolled: 1-line block ×5, first 2 shown]
	v_sub_f32_e32 v1, v26, v3
	v_fma_f32 v13, v23, 2.0, -v45
	v_fmamk_f32 v3, v6, 0xbf6c835e, v19
	v_fma_f32 v11, v17, 2.0, -v43
	v_fma_f32 v15, v4, 2.0, -v33
	v_fmamk_f32 v7, v12, 0xbf3504f3, v18
	v_sub_f32_e32 v0, v21, v2
	v_fmamk_f32 v2, v9, 0xbf6c835e, v27
	v_fmac_f32_e32 v3, 0xbec3ef15, v9
	v_fmamk_f32 v9, v13, 0xbec3ef15, v22
	v_fmamk_f32 v8, v15, 0xbec3ef15, v41
	v_fmac_f32_e32 v7, 0xbf3504f3, v11
	v_sub_f32_e32 v17, v25, v34
	v_fmac_f32_e32 v2, 0x3ec3ef15, v6
	v_fmac_f32_e32 v9, 0xbf6c835e, v15
	v_fmamk_f32 v6, v11, 0xbf3504f3, v14
	v_fmac_f32_e32 v8, 0x3f6c835e, v13
	v_fma_f32 v11, v19, 2.0, -v3
	v_fma_f32 v13, v18, 2.0, -v7
	v_fmamk_f32 v18, v31, 0x3ec3ef15, v35
	v_fmamk_f32 v19, v42, 0x3ec3ef15, v36
	v_fma_f32 v4, v21, 2.0, -v0
	v_fma_f32 v15, v22, 2.0, -v9
	;; [unrolled: 1-line block ×3, first 2 shown]
	v_fmamk_f32 v22, v43, 0x3f3504f3, v38
	v_fmamk_f32 v23, v44, 0x3f3504f3, v39
	;; [unrolled: 1-line block ×4, first 2 shown]
	v_fmac_f32_e32 v6, 0x3f3504f3, v12
	v_add_f32_e32 v16, v32, v16
	v_fmac_f32_e32 v18, 0x3f6c835e, v42
	v_fmac_f32_e32 v19, 0xbf6c835e, v31
	;; [unrolled: 1-line block ×6, first 2 shown]
	v_fma_f32 v5, v26, 2.0, -v1
	v_fma_f32 v10, v27, 2.0, -v2
	;; [unrolled: 1-line block ×11, first 2 shown]
	ds_write2_b64 v110, v[4:5], v[10:11] offset1:48
	ds_write2_b64 v110, v[12:13], v[14:15] offset0:96 offset1:144
	ds_write2_b64 v110, v[20:21], v[26:27] offset0:192 offset1:240
	;; [unrolled: 1-line block ×7, first 2 shown]
	s_waitcnt lgkmcnt(0)
	s_barrier
	buffer_gl0_inv
	ds_read2_b64 v[0:3], v110 offset1:48
	v_mad_u64_u32 v[8:9], null, s10, v72, 0
	v_mad_u64_u32 v[12:13], null, s8, v111, 0
	;; [unrolled: 1-line block ×3, first 2 shown]
	s_waitcnt lgkmcnt(0)
	v_mul_f32_e32 v4, v96, v1
	v_mul_f32_e32 v5, v96, v0
	;; [unrolled: 1-line block ×4, first 2 shown]
	v_fmac_f32_e32 v4, v95, v0
	v_fma_f32 v5, v95, v1, -v5
	v_fmac_f32_e32 v14, v93, v2
	v_mov_b32_e32 v2, v9
	v_fma_f32 v9, v93, v3, -v16
	v_cvt_f64_f32_e32 v[0:1], v4
	v_cvt_f64_f32_e32 v[4:5], v5
	;; [unrolled: 1-line block ×3, first 2 shown]
	v_mad_u64_u32 v[2:3], null, s11, v72, v[2:3]
	v_mov_b32_e32 v3, v13
	v_cvt_f64_f32_e32 v[16:17], v9
	v_mov_b32_e32 v9, v2
	v_lshlrev_b64 v[8:9], 3, v[8:9]
	v_mul_f64 v[0:1], v[0:1], s[0:1]
	v_mul_f64 v[10:11], v[4:5], s[0:1]
	ds_read2_b64 v[4:7], v110 offset0:96 offset1:144
	v_add_co_u32 v44, vcc_lo, s4, v8
	v_add_co_ci_u32_e32 v45, vcc_lo, s5, v9, vcc_lo
	v_mul_f64 v[16:17], v[16:17], s[0:1]
	s_mul_i32 s4, s9, 0x300
	s_mul_hi_u32 s5, s8, 0x300
	s_add_i32 s4, s5, s4
	s_mul_i32 s5, s8, 0x300
	s_waitcnt lgkmcnt(0)
	v_mad_u64_u32 v[18:19], null, s9, v111, v[3:4]
	v_mul_f32_e32 v2, v92, v5
	v_cvt_f32_f64_e32 v19, v[0:1]
	v_mul_f32_e32 v0, v92, v4
	v_mul_f32_e32 v1, v90, v7
	v_cvt_f32_f64_e32 v20, v[10:11]
	v_fmac_f32_e32 v2, v91, v4
	v_mov_b32_e32 v13, v18
	v_fma_f32 v0, v91, v5, -v0
	v_mul_f64 v[4:5], v[14:15], s[0:1]
	v_fmac_f32_e32 v1, v89, v6
	v_cvt_f64_f32_e32 v[10:11], v2
	v_mul_f32_e32 v2, v90, v6
	v_cvt_f64_f32_e32 v[14:15], v0
	v_lshlrev_b64 v[12:13], 3, v[12:13]
	v_cvt_f64_f32_e32 v[21:22], v1
	v_fma_f32 v6, v89, v7, -v2
	ds_read2_b64 v[0:3], v110 offset0:192 offset1:240
	v_add_co_u32 v12, vcc_lo, v44, v12
	v_cvt_f64_f32_e32 v[8:9], v6
	v_add_co_ci_u32_e32 v13, vcc_lo, v45, v13, vcc_lo
	global_store_dwordx2 v[12:13], v[19:20], off
	v_cvt_f32_f64_e32 v19, v[16:17]
	v_add_co_u32 v12, vcc_lo, v12, s3
	v_cvt_f32_f64_e32 v18, v[4:5]
	v_mul_f64 v[10:11], v[10:11], s[0:1]
	v_add_co_ci_u32_e32 v13, vcc_lo, s2, v13, vcc_lo
	v_mul_f64 v[14:15], v[14:15], s[0:1]
	v_mul_f64 v[16:17], v[21:22], s[0:1]
	s_waitcnt lgkmcnt(0)
	v_mul_f32_e32 v4, v86, v0
	v_mul_f32_e32 v20, v86, v1
	;; [unrolled: 1-line block ×3, first 2 shown]
	v_fma_f32 v21, v85, v1, -v4
	ds_read2_b64 v[4:7], v30 offset0:32 offset1:80
	v_fmac_f32_e32 v20, v85, v0
	v_mul_f64 v[0:1], v[8:9], s[0:1]
	v_fmac_f32_e32 v22, v79, v2
	v_mul_f32_e32 v2, v80, v2
	v_cvt_f64_f32_e32 v[8:9], v20
	v_cvt_f64_f32_e32 v[20:21], v21
	v_fma_f32 v2, v79, v3, -v2
	v_cvt_f32_f64_e32 v10, v[10:11]
	v_cvt_f32_f64_e32 v11, v[14:15]
	v_cvt_f64_f32_e32 v[14:15], v22
	v_cvt_f32_f64_e32 v16, v[16:17]
	v_add_co_u32 v22, vcc_lo, v12, s3
	v_add_co_ci_u32_e32 v23, vcc_lo, s2, v13, vcc_lo
	s_waitcnt lgkmcnt(0)
	v_mul_f32_e32 v26, v88, v5
	v_mul_f32_e32 v27, v88, v4
	;; [unrolled: 1-line block ×3, first 2 shown]
	v_cvt_f32_f64_e32 v17, v[0:1]
	v_mov_b32_e32 v0, v25
	v_fmac_f32_e32 v26, v87, v4
	v_fma_f32 v1, v87, v5, -v27
	v_cvt_f64_f32_e32 v[4:5], v2
	v_mul_f32_e32 v25, v84, v7
	v_mul_f64 v[8:9], v[8:9], s[0:1]
	v_cvt_f64_f32_e32 v[26:27], v26
	v_cvt_f64_f32_e32 v[31:32], v1
	v_mad_u64_u32 v[33:34], null, s9, v109, v[0:1]
	ds_read2_b64 v[0:3], v30 offset0:128 offset1:176
	v_fmac_f32_e32 v25, v83, v6
	v_mul_f64 v[14:15], v[14:15], s[0:1]
	v_fma_f32 v30, v83, v7, -v35
	v_mul_f64 v[20:21], v[20:21], s[0:1]
	v_add_co_u32 v6, vcc_lo, v22, s3
	v_cvt_f64_f32_e32 v[34:35], v25
	v_cvt_f64_f32_e32 v[36:37], v30
	v_add_co_ci_u32_e32 v7, vcc_lo, s2, v23, vcc_lo
	global_store_dwordx2 v[12:13], v[18:19], off
	global_store_dwordx2 v[22:23], v[10:11], off
	v_mov_b32_e32 v25, v33
	global_store_dwordx2 v[6:7], v[16:17], off
	v_mul_f64 v[4:5], v[4:5], s[0:1]
	v_lshlrev_b64 v[10:11], 3, v[24:25]
	v_mul_f64 v[12:13], v[26:27], s[0:1]
	v_mul_f64 v[16:17], v[31:32], s[0:1]
	s_waitcnt lgkmcnt(0)
	v_mul_f32_e32 v22, v82, v1
	v_cvt_f32_f64_e32 v8, v[8:9]
	v_mul_f32_e32 v31, v78, v3
	v_add_co_u32 v10, vcc_lo, v44, v10
	v_cvt_f32_f64_e32 v14, v[14:15]
	v_mul_f32_e32 v15, v82, v0
	v_fmac_f32_e32 v22, v81, v0
	v_cvt_f32_f64_e32 v9, v[20:21]
	v_mul_f64 v[18:19], v[34:35], s[0:1]
	v_mul_f64 v[20:21], v[36:37], s[0:1]
	v_fma_f32 v23, v81, v1, -v15
	v_cvt_f64_f32_e32 v[0:1], v22
	v_add_co_ci_u32_e32 v11, vcc_lo, v45, v11, vcc_lo
	v_add_co_u32 v24, vcc_lo, v6, s5
	v_cvt_f32_f64_e32 v15, v[4:5]
	v_add_co_ci_u32_e32 v25, vcc_lo, s4, v7, vcc_lo
	ds_read2_b64 v[4:7], v29 offset0:96 offset1:144
	v_cvt_f64_f32_e32 v[22:23], v23
	v_cvt_f32_f64_e32 v12, v[12:13]
	v_cvt_f32_f64_e32 v13, v[16:17]
	v_mad_u64_u32 v[16:17], null, s8, v108, 0
	v_fmac_f32_e32 v31, v77, v2
	v_add_co_u32 v26, vcc_lo, v24, s3
	v_add_co_ci_u32_e32 v27, vcc_lo, s2, v25, vcc_lo
	v_cvt_f32_f64_e32 v18, v[18:19]
	v_cvt_f32_f64_e32 v19, v[20:21]
	v_add_co_u32 v42, vcc_lo, v26, s3
	v_mul_f64 v[20:21], v[0:1], s[0:1]
	v_mov_b32_e32 v0, v17
	v_mul_f32_e32 v1, v78, v2
	v_add_co_ci_u32_e32 v43, vcc_lo, s2, v27, vcc_lo
	s_waitcnt lgkmcnt(0)
	v_mul_f32_e32 v17, v74, v5
	v_mul_f32_e32 v2, v76, v6
	v_mad_u64_u32 v[29:30], null, s9, v108, v[0:1]
	v_fma_f32 v0, v77, v3, -v1
	v_mul_f32_e32 v1, v74, v4
	v_mul_f32_e32 v38, v76, v7
	v_fmac_f32_e32 v17, v73, v4
	v_mul_f64 v[22:23], v[22:23], s[0:1]
	v_cvt_f64_f32_e32 v[32:33], v0
	v_fma_f32 v4, v73, v5, -v1
	v_fma_f32 v5, v75, v7, -v2
	ds_read2_b64 v[0:3], v28 offset0:64 offset1:112
	v_fmac_f32_e32 v38, v75, v6
	v_cvt_f64_f32_e32 v[30:31], v31
	global_store_dwordx2 v[10:11], v[8:9], off
	global_store_dwordx2 v[24:25], v[14:15], off
	;; [unrolled: 1-line block ×3, first 2 shown]
	v_cvt_f64_f32_e32 v[36:37], v4
	v_cvt_f64_f32_e32 v[40:41], v5
	ds_read2_b64 v[4:7], v28 offset0:160 offset1:208
	v_cvt_f64_f32_e32 v[38:39], v38
	v_cvt_f64_f32_e32 v[34:35], v17
	v_cvt_f32_f64_e32 v8, v[20:21]
	v_mov_b32_e32 v17, v29
	global_store_dwordx2 v[42:43], v[18:19], off
	v_lshlrev_b64 v[10:11], 3, v[16:17]
	v_cvt_f32_f64_e32 v9, v[22:23]
	v_mul_f64 v[14:15], v[32:33], s[0:1]
	s_waitcnt lgkmcnt(1)
	v_mul_f32_e32 v20, v65, v0
	v_mul_f32_e32 v26, v67, v3
	;; [unrolled: 1-line block ×3, first 2 shown]
	v_add_co_u32 v10, vcc_lo, v44, v10
	v_fma_f32 v24, v64, v1, -v20
	v_fmac_f32_e32 v26, v66, v2
	v_mul_f32_e32 v2, v67, v2
	s_waitcnt lgkmcnt(0)
	v_mul_f32_e32 v28, v69, v5
	v_mul_f32_e32 v29, v69, v4
	v_mul_f64 v[12:13], v[30:31], s[0:1]
	v_mul_f32_e32 v30, v71, v7
	v_mul_f32_e32 v31, v71, v6
	v_fmac_f32_e32 v22, v64, v0
	v_mul_f64 v[0:1], v[38:39], s[0:1]
	v_mul_f64 v[20:21], v[40:41], s[0:1]
	v_cvt_f64_f32_e32 v[24:25], v24
	v_cvt_f64_f32_e32 v[26:27], v26
	v_fma_f32 v2, v66, v3, -v2
	v_fmac_f32_e32 v28, v68, v4
	v_fma_f32 v29, v68, v5, -v29
	v_fmac_f32_e32 v30, v70, v6
	v_fma_f32 v31, v70, v7, -v31
	v_mul_f64 v[16:17], v[34:35], s[0:1]
	v_mul_f64 v[18:19], v[36:37], s[0:1]
	v_cvt_f64_f32_e32 v[22:23], v22
	v_cvt_f64_f32_e32 v[2:3], v2
	;; [unrolled: 1-line block ×6, first 2 shown]
	v_add_co_ci_u32_e32 v11, vcc_lo, v45, v11, vcc_lo
	v_cvt_f32_f64_e32 v12, v[12:13]
	v_cvt_f32_f64_e32 v13, v[14:15]
	v_add_co_u32 v14, vcc_lo, v42, s5
	v_cvt_f32_f64_e32 v0, v[0:1]
	v_cvt_f32_f64_e32 v1, v[20:21]
	v_mul_f64 v[20:21], v[24:25], s[0:1]
	v_mul_f64 v[24:25], v[26:27], s[0:1]
	v_add_co_ci_u32_e32 v15, vcc_lo, s4, v43, vcc_lo
	v_cvt_f32_f64_e32 v16, v[16:17]
	v_cvt_f32_f64_e32 v17, v[18:19]
	v_mul_f64 v[18:19], v[22:23], s[0:1]
	v_mul_f64 v[2:3], v[2:3], s[0:1]
	;; [unrolled: 1-line block ×6, first 2 shown]
	v_mad_u64_u32 v[22:23], null, s8, v107, 0
	v_add_co_u32 v30, vcc_lo, v14, s3
	v_add_co_ci_u32_e32 v31, vcc_lo, s2, v15, vcc_lo
	v_add_co_u32 v32, vcc_lo, v30, s3
	v_mad_u64_u32 v[34:35], null, s9, v107, v[23:24]
	v_add_co_ci_u32_e32 v33, vcc_lo, s2, v31, vcc_lo
	global_store_dwordx2 v[10:11], v[8:9], off
	global_store_dwordx2 v[14:15], v[12:13], off
	;; [unrolled: 1-line block ×4, first 2 shown]
	v_cvt_f32_f64_e32 v1, v[20:21]
	v_cvt_f32_f64_e32 v8, v[24:25]
	;; [unrolled: 1-line block ×8, first 2 shown]
	v_mov_b32_e32 v23, v34
	v_add_co_u32 v6, vcc_lo, v32, s5
	v_add_co_ci_u32_e32 v7, vcc_lo, s4, v33, vcc_lo
	v_lshlrev_b64 v[10:11], 3, v[22:23]
	v_add_co_u32 v12, vcc_lo, v6, s3
	v_add_co_ci_u32_e32 v13, vcc_lo, s2, v7, vcc_lo
	v_add_co_u32 v10, vcc_lo, v44, v10
	v_add_co_ci_u32_e32 v11, vcc_lo, v45, v11, vcc_lo
	;; [unrolled: 2-line block ×3, first 2 shown]
	global_store_dwordx2 v[10:11], v[0:1], off
	global_store_dwordx2 v[6:7], v[8:9], off
	;; [unrolled: 1-line block ×4, first 2 shown]
.LBB0_10:
	s_endpgm
	.section	.rodata,"a",@progbits
	.p2align	6, 0x0
	.amdhsa_kernel bluestein_single_fwd_len768_dim1_sp_op_CI_CI
		.amdhsa_group_segment_fixed_size 6144
		.amdhsa_private_segment_fixed_size 0
		.amdhsa_kernarg_size 104
		.amdhsa_user_sgpr_count 6
		.amdhsa_user_sgpr_private_segment_buffer 1
		.amdhsa_user_sgpr_dispatch_ptr 0
		.amdhsa_user_sgpr_queue_ptr 0
		.amdhsa_user_sgpr_kernarg_segment_ptr 1
		.amdhsa_user_sgpr_dispatch_id 0
		.amdhsa_user_sgpr_flat_scratch_init 0
		.amdhsa_user_sgpr_private_segment_size 0
		.amdhsa_wavefront_size32 1
		.amdhsa_uses_dynamic_stack 0
		.amdhsa_system_sgpr_private_segment_wavefront_offset 0
		.amdhsa_system_sgpr_workgroup_id_x 1
		.amdhsa_system_sgpr_workgroup_id_y 0
		.amdhsa_system_sgpr_workgroup_id_z 0
		.amdhsa_system_sgpr_workgroup_info 0
		.amdhsa_system_vgpr_workitem_id 0
		.amdhsa_next_free_vgpr 161
		.amdhsa_next_free_sgpr 20
		.amdhsa_reserve_vcc 1
		.amdhsa_reserve_flat_scratch 0
		.amdhsa_float_round_mode_32 0
		.amdhsa_float_round_mode_16_64 0
		.amdhsa_float_denorm_mode_32 3
		.amdhsa_float_denorm_mode_16_64 3
		.amdhsa_dx10_clamp 1
		.amdhsa_ieee_mode 1
		.amdhsa_fp16_overflow 0
		.amdhsa_workgroup_processor_mode 1
		.amdhsa_memory_ordered 1
		.amdhsa_forward_progress 0
		.amdhsa_shared_vgpr_count 0
		.amdhsa_exception_fp_ieee_invalid_op 0
		.amdhsa_exception_fp_denorm_src 0
		.amdhsa_exception_fp_ieee_div_zero 0
		.amdhsa_exception_fp_ieee_overflow 0
		.amdhsa_exception_fp_ieee_underflow 0
		.amdhsa_exception_fp_ieee_inexact 0
		.amdhsa_exception_int_div_zero 0
	.end_amdhsa_kernel
	.text
.Lfunc_end0:
	.size	bluestein_single_fwd_len768_dim1_sp_op_CI_CI, .Lfunc_end0-bluestein_single_fwd_len768_dim1_sp_op_CI_CI
                                        ; -- End function
	.section	.AMDGPU.csdata,"",@progbits
; Kernel info:
; codeLenInByte = 11176
; NumSgprs: 22
; NumVgprs: 161
; ScratchSize: 0
; MemoryBound: 0
; FloatMode: 240
; IeeeMode: 1
; LDSByteSize: 6144 bytes/workgroup (compile time only)
; SGPRBlocks: 2
; VGPRBlocks: 20
; NumSGPRsForWavesPerEU: 22
; NumVGPRsForWavesPerEU: 161
; Occupancy: 5
; WaveLimiterHint : 1
; COMPUTE_PGM_RSRC2:SCRATCH_EN: 0
; COMPUTE_PGM_RSRC2:USER_SGPR: 6
; COMPUTE_PGM_RSRC2:TRAP_HANDLER: 0
; COMPUTE_PGM_RSRC2:TGID_X_EN: 1
; COMPUTE_PGM_RSRC2:TGID_Y_EN: 0
; COMPUTE_PGM_RSRC2:TGID_Z_EN: 0
; COMPUTE_PGM_RSRC2:TIDIG_COMP_CNT: 0
	.text
	.p2alignl 6, 3214868480
	.fill 48, 4, 3214868480
	.type	__hip_cuid_b65c55bf904cd522,@object ; @__hip_cuid_b65c55bf904cd522
	.section	.bss,"aw",@nobits
	.globl	__hip_cuid_b65c55bf904cd522
__hip_cuid_b65c55bf904cd522:
	.byte	0                               ; 0x0
	.size	__hip_cuid_b65c55bf904cd522, 1

	.ident	"AMD clang version 19.0.0git (https://github.com/RadeonOpenCompute/llvm-project roc-6.4.0 25133 c7fe45cf4b819c5991fe208aaa96edf142730f1d)"
	.section	".note.GNU-stack","",@progbits
	.addrsig
	.addrsig_sym __hip_cuid_b65c55bf904cd522
	.amdgpu_metadata
---
amdhsa.kernels:
  - .args:
      - .actual_access:  read_only
        .address_space:  global
        .offset:         0
        .size:           8
        .value_kind:     global_buffer
      - .actual_access:  read_only
        .address_space:  global
        .offset:         8
        .size:           8
        .value_kind:     global_buffer
      - .actual_access:  read_only
        .address_space:  global
        .offset:         16
        .size:           8
        .value_kind:     global_buffer
      - .actual_access:  read_only
        .address_space:  global
        .offset:         24
        .size:           8
        .value_kind:     global_buffer
      - .actual_access:  read_only
        .address_space:  global
        .offset:         32
        .size:           8
        .value_kind:     global_buffer
      - .offset:         40
        .size:           8
        .value_kind:     by_value
      - .address_space:  global
        .offset:         48
        .size:           8
        .value_kind:     global_buffer
      - .address_space:  global
        .offset:         56
        .size:           8
        .value_kind:     global_buffer
      - .address_space:  global
        .offset:         64
        .size:           8
        .value_kind:     global_buffer
      - .address_space:  global
        .offset:         72
        .size:           8
        .value_kind:     global_buffer
      - .offset:         80
        .size:           4
        .value_kind:     by_value
      - .address_space:  global
        .offset:         88
        .size:           8
        .value_kind:     global_buffer
      - .address_space:  global
        .offset:         96
        .size:           8
        .value_kind:     global_buffer
    .group_segment_fixed_size: 6144
    .kernarg_segment_align: 8
    .kernarg_segment_size: 104
    .language:       OpenCL C
    .language_version:
      - 2
      - 0
    .max_flat_workgroup_size: 48
    .name:           bluestein_single_fwd_len768_dim1_sp_op_CI_CI
    .private_segment_fixed_size: 0
    .sgpr_count:     22
    .sgpr_spill_count: 0
    .symbol:         bluestein_single_fwd_len768_dim1_sp_op_CI_CI.kd
    .uniform_work_group_size: 1
    .uses_dynamic_stack: false
    .vgpr_count:     161
    .vgpr_spill_count: 0
    .wavefront_size: 32
    .workgroup_processor_mode: 1
amdhsa.target:   amdgcn-amd-amdhsa--gfx1030
amdhsa.version:
  - 1
  - 2
...

	.end_amdgpu_metadata
